;; amdgpu-corpus repo=ROCm/rocFFT kind=compiled arch=gfx1201 opt=O3
	.text
	.amdgcn_target "amdgcn-amd-amdhsa--gfx1201"
	.amdhsa_code_object_version 6
	.protected	bluestein_single_fwd_len525_dim1_sp_op_CI_CI ; -- Begin function bluestein_single_fwd_len525_dim1_sp_op_CI_CI
	.globl	bluestein_single_fwd_len525_dim1_sp_op_CI_CI
	.p2align	8
	.type	bluestein_single_fwd_len525_dim1_sp_op_CI_CI,@function
bluestein_single_fwd_len525_dim1_sp_op_CI_CI: ; @bluestein_single_fwd_len525_dim1_sp_op_CI_CI
; %bb.0:
	s_load_b128 s[8:11], s[0:1], 0x28
	v_mul_u32_u24_e32 v1, 0x271, v0
	s_mov_b32 s2, exec_lo
	v_mov_b32_e32 v37, 0
	s_delay_alu instid0(VALU_DEP_2) | instskip(NEXT) | instid1(VALU_DEP_1)
	v_lshrrev_b32_e32 v1, 16, v1
	v_add_nc_u32_e32 v36, ttmp9, v1
	s_wait_kmcnt 0x0
	s_delay_alu instid0(VALU_DEP_1)
	v_cmpx_gt_u64_e64 s[8:9], v[36:37]
	s_cbranch_execz .LBB0_23
; %bb.1:
	s_clause 0x1
	s_load_b64 s[12:13], s[0:1], 0x0
	s_load_b64 s[8:9], s[0:1], 0x38
	v_mul_lo_u16 v1, 0x69, v1
	s_delay_alu instid0(VALU_DEP_1) | instskip(NEXT) | instid1(VALU_DEP_1)
	v_sub_nc_u16 v0, v0, v1
	v_and_b32_e32 v39, 0xffff, v0
	v_cmp_gt_u16_e32 vcc_lo, 0x4b, v0
	s_delay_alu instid0(VALU_DEP_2)
	v_lshlrev_b32_e32 v40, 3, v39
	s_and_saveexec_b32 s3, vcc_lo
	s_cbranch_execz .LBB0_3
; %bb.2:
	s_load_b64 s[4:5], s[0:1], 0x18
	s_delay_alu instid0(VALU_DEP_1)
	v_add_nc_u32_e32 v30, 0x800, v40
	s_wait_kmcnt 0x0
	s_load_b128 s[4:7], s[4:5], 0x0
	s_wait_kmcnt 0x0
	v_mad_co_u64_u32 v[0:1], null, s6, v36, 0
	v_mad_co_u64_u32 v[2:3], null, s4, v39, 0
	s_delay_alu instid0(VALU_DEP_1) | instskip(NEXT) | instid1(VALU_DEP_1)
	v_mad_co_u64_u32 v[4:5], null, s7, v36, v[1:2]
	v_mad_co_u64_u32 v[5:6], null, s5, v39, v[3:4]
	v_mov_b32_e32 v1, v4
	s_mul_u64 s[4:5], s[4:5], 0x258
	s_delay_alu instid0(VALU_DEP_1) | instskip(NEXT) | instid1(VALU_DEP_3)
	v_lshlrev_b64_e32 v[0:1], 3, v[0:1]
	v_mov_b32_e32 v3, v5
	s_delay_alu instid0(VALU_DEP_2) | instskip(NEXT) | instid1(VALU_DEP_2)
	v_add_co_u32 v10, s2, s10, v0
	v_lshlrev_b64_e32 v[2:3], 3, v[2:3]
	s_delay_alu instid0(VALU_DEP_4)
	v_add_co_ci_u32_e64 v11, s2, s11, v1, s2
	s_clause 0x4
	global_load_b64 v[0:1], v40, s[12:13]
	global_load_b64 v[4:5], v40, s[12:13] offset:600
	global_load_b64 v[6:7], v40, s[12:13] offset:1200
	;; [unrolled: 1-line block ×4, first 2 shown]
	v_add_co_u32 v2, s2, v10, v2
	s_wait_alu 0xf1ff
	v_add_co_ci_u32_e64 v3, s2, v11, v3, s2
	s_wait_alu 0xfffe
	s_delay_alu instid0(VALU_DEP_2) | instskip(SKIP_1) | instid1(VALU_DEP_2)
	v_add_co_u32 v10, s2, v2, s4
	s_wait_alu 0xf1ff
	v_add_co_ci_u32_e64 v11, s2, s5, v3, s2
	global_load_b64 v[2:3], v[2:3], off
	v_add_co_u32 v14, s2, v10, s4
	s_wait_alu 0xf1ff
	v_add_co_ci_u32_e64 v15, s2, s5, v11, s2
	global_load_b64 v[10:11], v[10:11], off
	v_add_co_u32 v16, s2, v14, s4
	s_wait_alu 0xf1ff
	v_add_co_ci_u32_e64 v17, s2, s5, v15, s2
	s_delay_alu instid0(VALU_DEP_2) | instskip(SKIP_1) | instid1(VALU_DEP_2)
	v_add_co_u32 v18, s2, v16, s4
	s_wait_alu 0xf1ff
	v_add_co_ci_u32_e64 v19, s2, s5, v17, s2
	s_clause 0x1
	global_load_b64 v[14:15], v[14:15], off
	global_load_b64 v[16:17], v[16:17], off
	v_add_co_u32 v20, s2, v18, s4
	s_wait_alu 0xf1ff
	v_add_co_ci_u32_e64 v21, s2, s5, v19, s2
	global_load_b64 v[18:19], v[18:19], off
	v_add_co_u32 v22, s2, v20, s4
	s_wait_alu 0xf1ff
	v_add_co_ci_u32_e64 v23, s2, s5, v21, s2
	global_load_b64 v[20:21], v[20:21], off
	s_clause 0x1
	global_load_b64 v[24:25], v40, s[12:13] offset:3000
	global_load_b64 v[26:27], v40, s[12:13] offset:3600
	global_load_b64 v[22:23], v[22:23], off
	s_wait_loadcnt 0x8
	v_mul_f32_e32 v28, v3, v1
	v_mul_f32_e32 v29, v2, v1
	s_wait_loadcnt 0x7
	v_mul_f32_e32 v1, v11, v5
	v_mul_f32_e32 v5, v10, v5
	s_delay_alu instid0(VALU_DEP_3) | instskip(NEXT) | instid1(VALU_DEP_3)
	v_fma_f32 v29, v3, v0, -v29
	v_fmac_f32_e32 v1, v10, v4
	v_fmac_f32_e32 v28, v2, v0
	s_delay_alu instid0(VALU_DEP_4)
	v_fma_f32 v2, v11, v4, -v5
	s_wait_loadcnt 0x6
	v_mul_f32_e32 v0, v14, v7
	v_mul_f32_e32 v3, v15, v7
	s_wait_loadcnt 0x5
	v_mul_f32_e32 v5, v17, v9
	v_mul_f32_e32 v9, v16, v9
	v_fma_f32 v4, v15, v6, -v0
	s_wait_loadcnt 0x4
	v_mul_f32_e32 v0, v18, v13
	v_fmac_f32_e32 v3, v14, v6
	v_mul_f32_e32 v7, v19, v13
	s_wait_loadcnt 0x2
	v_mul_f32_e32 v10, v20, v25
	v_fma_f32 v6, v17, v8, -v9
	v_mul_f32_e32 v9, v21, v25
	s_wait_loadcnt 0x0
	v_mul_f32_e32 v11, v23, v27
	v_mul_f32_e32 v13, v22, v27
	v_fmac_f32_e32 v5, v16, v8
	v_fmac_f32_e32 v7, v18, v12
	v_fma_f32 v8, v19, v12, -v0
	v_fmac_f32_e32 v9, v20, v24
	v_fma_f32 v10, v21, v24, -v10
	;; [unrolled: 2-line block ×3, first 2 shown]
	ds_store_2addr_b64 v40, v[28:29], v[1:2] offset1:75
	ds_store_2addr_b64 v40, v[3:4], v[5:6] offset0:150 offset1:225
	ds_store_2addr_b64 v30, v[7:8], v[9:10] offset0:44 offset1:119
	ds_store_b64 v40, v[11:12] offset:3600
.LBB0_3:
	s_or_b32 exec_lo, exec_lo, s3
	v_mov_b32_e32 v2, 0
	v_mov_b32_e32 v3, 0
	s_delay_alu instid0(VALU_DEP_2)
	v_mov_b32_e32 v0, v2
	global_wb scope:SCOPE_SE
	s_wait_dscnt 0x0
	s_wait_kmcnt 0x0
	s_barrier_signal -1
	s_barrier_wait -1
	v_mov_b32_e32 v1, v3
	v_dual_mov_b32 v5, v3 :: v_dual_mov_b32 v4, v2
	v_dual_mov_b32 v9, v3 :: v_dual_mov_b32 v8, v2
	global_inv scope:SCOPE_SE
                                        ; implicit-def: $vgpr12
	s_and_saveexec_b32 s2, vcc_lo
	s_cbranch_execz .LBB0_5
; %bb.4:
	v_add_nc_u32_e32 v8, 0x800, v40
	ds_load_2addr_b64 v[0:3], v40 offset1:75
	ds_load_2addr_b64 v[4:7], v40 offset0:150 offset1:225
	ds_load_2addr_b64 v[8:11], v8 offset0:44 offset1:119
	ds_load_b64 v[12:13], v40 offset:3600
.LBB0_5:
	s_wait_alu 0xfffe
	s_or_b32 exec_lo, exec_lo, s2
	s_wait_dscnt 0x0
	v_dual_add_f32 v14, v12, v2 :: v_dual_add_f32 v15, v13, v3
	v_dual_sub_f32 v2, v2, v12 :: v_dual_sub_f32 v3, v3, v13
	v_dual_add_f32 v12, v10, v4 :: v_dual_add_f32 v13, v11, v5
	v_dual_sub_f32 v4, v4, v10 :: v_dual_sub_f32 v5, v5, v11
	;; [unrolled: 2-line block ×3, first 2 shown]
	s_delay_alu instid0(VALU_DEP_4) | instskip(SKIP_1) | instid1(VALU_DEP_4)
	v_dual_add_f32 v8, v14, v12 :: v_dual_add_f32 v9, v15, v13
	v_dual_sub_f32 v16, v12, v14 :: v_dual_sub_f32 v17, v13, v15
	v_dual_sub_f32 v14, v14, v10 :: v_dual_sub_f32 v15, v15, v11
	;; [unrolled: 1-line block ×3, first 2 shown]
	v_dual_add_f32 v18, v4, v6 :: v_dual_add_f32 v19, v5, v7
	v_dual_sub_f32 v20, v6, v4 :: v_dual_sub_f32 v21, v7, v5
	v_dual_sub_f32 v4, v4, v2 :: v_dual_add_f32 v9, v9, v11
	v_dual_add_f32 v8, v8, v10 :: v_dual_sub_f32 v5, v5, v3
	v_dual_sub_f32 v6, v2, v6 :: v_dual_sub_f32 v7, v3, v7
	v_dual_add_f32 v10, v2, v18 :: v_dual_add_f32 v11, v3, v19
	s_delay_alu instid0(VALU_DEP_3)
	v_dual_add_f32 v0, v8, v0 :: v_dual_add_f32 v1, v9, v1
	v_dual_mul_f32 v2, 0x3f4a47b2, v14 :: v_dual_mul_f32 v3, 0x3f4a47b2, v15
	v_dual_mul_f32 v12, 0x3d64c772, v12 :: v_dual_mul_f32 v13, 0x3d64c772, v13
	v_dual_mul_f32 v18, 0xbf08b237, v20 :: v_dual_mul_f32 v19, 0xbf08b237, v21
	s_clause 0x1
	s_load_b64 s[4:5], s[0:1], 0x20
	s_load_b64 s[2:3], s[0:1], 0x8
	v_dual_mul_f32 v20, 0x3f5ff5aa, v4 :: v_dual_mul_f32 v21, 0x3f5ff5aa, v5
	v_dual_fmamk_f32 v8, v8, 0xbf955555, v0 :: v_dual_fmamk_f32 v9, v9, 0xbf955555, v1
	v_dual_fmamk_f32 v14, v14, 0x3f4a47b2, v12 :: v_dual_fmamk_f32 v15, v15, 0x3f4a47b2, v13
	v_fma_f32 v12, 0x3f3bfb3b, v16, -v12
	v_fma_f32 v13, 0x3f3bfb3b, v17, -v13
	;; [unrolled: 1-line block ×4, first 2 shown]
	v_dual_fmamk_f32 v2, v6, 0x3eae86e6, v18 :: v_dual_fmamk_f32 v3, v7, 0x3eae86e6, v19
	v_fma_f32 v18, 0x3f5ff5aa, v4, -v18
	v_fma_f32 v19, 0x3f5ff5aa, v5, -v19
	;; [unrolled: 1-line block ×4, first 2 shown]
	v_add_f32_e32 v7, v15, v9
	v_add_f32_e32 v15, v13, v9
	v_dual_add_f32 v9, v17, v9 :: v_dual_fmac_f32 v18, 0x3ee1c552, v10
	v_dual_add_f32 v5, v14, v8 :: v_dual_fmac_f32 v2, 0x3ee1c552, v10
	v_add_f32_e32 v14, v12, v8
	v_dual_add_f32 v8, v16, v8 :: v_dual_fmac_f32 v19, 0x3ee1c552, v11
	v_fmac_f32_e32 v6, 0x3ee1c552, v10
	v_dual_fmac_f32 v4, 0x3ee1c552, v11 :: v_dual_sub_f32 v17, v15, v18
	v_fmac_f32_e32 v3, 0x3ee1c552, v11
	s_delay_alu instid0(VALU_DEP_4)
	v_sub_f32_e32 v12, v14, v19
	v_add_f32_e32 v13, v18, v15
	v_add_f32_e32 v16, v14, v19
	v_dual_sub_f32 v14, v8, v4 :: v_dual_add_f32 v15, v6, v9
	v_sub_f32_e32 v37, v5, v3
	v_add_f32_e32 v38, v2, v7
	v_mul_lo_u16 v42, v39, 7
	global_wb scope:SCOPE_SE
	s_wait_kmcnt 0x0
	s_barrier_signal -1
	s_barrier_wait -1
	global_inv scope:SCOPE_SE
	s_and_saveexec_b32 s0, vcc_lo
	s_cbranch_execz .LBB0_7
; %bb.6:
	v_and_b32_e32 v11, 0xffff, v42
	v_sub_f32_e32 v6, v9, v6
	v_dual_sub_f32 v10, v7, v2 :: v_dual_add_f32 v9, v5, v3
	s_delay_alu instid0(VALU_DEP_3)
	v_dual_add_f32 v5, v8, v4 :: v_dual_lshlrev_b32 v2, 3, v11
	ds_store_2addr_b64 v2, v[0:1], v[9:10] offset1:1
	ds_store_2addr_b64 v2, v[5:6], v[12:13] offset0:2 offset1:3
	ds_store_2addr_b64 v2, v[16:17], v[14:15] offset0:4 offset1:5
	ds_store_b64 v2, v[37:38] offset:48
.LBB0_7:
	s_wait_alu 0xfffe
	s_or_b32 exec_lo, exec_lo, s0
	global_wb scope:SCOPE_SE
	s_wait_dscnt 0x0
	s_barrier_signal -1
	s_barrier_wait -1
	global_inv scope:SCOPE_SE
	ds_load_2addr_b64 v[8:11], v40 offset1:175
	ds_load_b64 v[18:19], v40 offset:2800
	v_cmp_gt_u16_e64 s0, 0x46, v39
	s_delay_alu instid0(VALU_DEP_1)
	s_and_saveexec_b32 s1, s0
	s_cbranch_execz .LBB0_9
; %bb.8:
	v_add_nc_u32_e32 v0, 0x200, v40
	ds_load_2addr_b64 v[0:3], v0 offset0:41 offset1:216
	ds_load_b64 v[14:15], v40 offset:3640
	s_wait_dscnt 0x1
	v_dual_mov_b32 v13, v1 :: v_dual_mov_b32 v12, v0
	v_dual_mov_b32 v17, v3 :: v_dual_mov_b32 v16, v2
.LBB0_9:
	s_wait_alu 0xfffe
	s_or_b32 exec_lo, exec_lo, s1
	v_and_b32_e32 v20, 0xff, v39
	v_add_nc_u16 v0, v39, 0x69
	s_load_b128 s[4:7], s[4:5], 0x0
	s_delay_alu instid0(VALU_DEP_2) | instskip(NEXT) | instid1(VALU_DEP_2)
	v_mul_lo_u16 v1, v20, 37
	v_and_b32_e32 v2, 0xff, v0
	s_delay_alu instid0(VALU_DEP_2) | instskip(NEXT) | instid1(VALU_DEP_2)
	v_lshrrev_b16 v1, 8, v1
	v_mul_lo_u16 v2, v2, 37
	s_delay_alu instid0(VALU_DEP_2) | instskip(NEXT) | instid1(VALU_DEP_2)
	v_sub_nc_u16 v3, v39, v1
	v_lshrrev_b16 v2, 8, v2
	s_delay_alu instid0(VALU_DEP_2) | instskip(NEXT) | instid1(VALU_DEP_2)
	v_lshrrev_b16 v3, 1, v3
	v_sub_nc_u16 v4, v0, v2
	s_delay_alu instid0(VALU_DEP_2) | instskip(NEXT) | instid1(VALU_DEP_2)
	v_and_b32_e32 v3, 0x7f, v3
	v_lshrrev_b16 v4, 1, v4
	s_delay_alu instid0(VALU_DEP_2) | instskip(NEXT) | instid1(VALU_DEP_2)
	v_add_nc_u16 v1, v3, v1
	v_and_b32_e32 v3, 0x7f, v4
	s_delay_alu instid0(VALU_DEP_2) | instskip(NEXT) | instid1(VALU_DEP_2)
	v_lshrrev_b16 v21, 2, v1
	v_add_nc_u16 v1, v3, v2
	s_delay_alu instid0(VALU_DEP_2) | instskip(NEXT) | instid1(VALU_DEP_2)
	v_mul_lo_u16 v2, v21, 7
	v_lshrrev_b16 v25, 2, v1
	v_and_b32_e32 v21, 0xffff, v21
	s_delay_alu instid0(VALU_DEP_3) | instskip(NEXT) | instid1(VALU_DEP_3)
	v_sub_nc_u16 v1, v39, v2
	v_mul_lo_u16 v2, v25, 7
	s_delay_alu instid0(VALU_DEP_3) | instskip(SKIP_1) | instid1(VALU_DEP_4)
	v_mul_u32_u24_e32 v21, 21, v21
	v_and_b32_e32 v44, 0xffff, v25
	v_and_b32_e32 v22, 0xff, v1
	s_delay_alu instid0(VALU_DEP_4) | instskip(NEXT) | instid1(VALU_DEP_2)
	v_sub_nc_u16 v0, v0, v2
	v_lshlrev_b32_e32 v1, 4, v22
	v_add_lshl_u32 v43, v21, v22, 3
	s_delay_alu instid0(VALU_DEP_3)
	v_and_b32_e32 v41, 0xff, v0
	global_load_b128 v[4:7], v1, s[2:3]
	s_wait_loadcnt_dscnt 0x1
	v_mul_f32_e32 v21, v11, v5
	s_wait_dscnt 0x0
	v_dual_mul_f32 v23, v19, v7 :: v_dual_mul_f32 v22, v10, v5
	v_mul_f32_e32 v24, v18, v7
	s_delay_alu instid0(VALU_DEP_3) | instskip(NEXT) | instid1(VALU_DEP_3)
	v_fma_f32 v21, v10, v4, -v21
	v_fma_f32 v23, v18, v6, -v23
	s_delay_alu instid0(VALU_DEP_4) | instskip(NEXT) | instid1(VALU_DEP_2)
	v_fmac_f32_e32 v22, v11, v4
	v_dual_fmac_f32 v24, v19, v6 :: v_dual_sub_f32 v27, v21, v23
	s_delay_alu instid0(VALU_DEP_2)
	v_dual_add_f32 v19, v9, v22 :: v_dual_lshlrev_b32 v0, 4, v41
	global_load_b128 v[0:3], v0, s[2:3]
	global_wb scope:SCOPE_SE
	s_wait_loadcnt 0x0
	s_wait_kmcnt 0x0
	s_barrier_signal -1
	s_barrier_wait -1
	global_inv scope:SCOPE_SE
	v_dual_mul_f32 v11, v17, v1 :: v_dual_mul_f32 v10, v14, v3
	v_mul_f32_e32 v26, v15, v3
	v_mul_f32_e32 v18, v16, v1
	s_delay_alu instid0(VALU_DEP_3) | instskip(NEXT) | instid1(VALU_DEP_3)
	v_fma_f32 v16, v16, v0, -v11
	v_fma_f32 v11, v14, v2, -v26
	v_fmac_f32_e32 v10, v15, v2
	v_dual_add_f32 v14, v8, v21 :: v_dual_add_f32 v15, v21, v23
	v_fmac_f32_e32 v18, v17, v0
	v_sub_f32_e32 v17, v22, v24
	s_delay_alu instid0(VALU_DEP_3) | instskip(NEXT) | instid1(VALU_DEP_4)
	v_add_f32_e32 v21, v14, v23
	v_fma_f32 v23, -0.5, v15, v8
	v_dual_add_f32 v26, v22, v24 :: v_dual_sub_f32 v15, v16, v11
	v_add_f32_e32 v22, v19, v24
	s_delay_alu instid0(VALU_DEP_3) | instskip(SKIP_1) | instid1(VALU_DEP_4)
	v_fmamk_f32 v28, v17, 0x3f5db3d7, v23
	v_fmac_f32_e32 v23, 0xbf5db3d7, v17
	v_fma_f32 v24, -0.5, v26, v9
	v_dual_add_f32 v9, v18, v10 :: v_dual_add_f32 v8, v16, v11
	s_delay_alu instid0(VALU_DEP_2) | instskip(NEXT) | instid1(VALU_DEP_2)
	v_fmamk_f32 v29, v27, 0xbf5db3d7, v24
	v_fma_f32 v9, -0.5, v9, v13
	v_sub_f32_e32 v14, v18, v10
	s_delay_alu instid0(VALU_DEP_4)
	v_fma_f32 v8, -0.5, v8, v12
	v_fmac_f32_e32 v24, 0x3f5db3d7, v27
	ds_store_2addr_b64 v43, v[21:22], v[28:29] offset1:7
	ds_store_b64 v43, v[23:24] offset:112
	v_fmamk_f32 v27, v15, 0x3f5db3d7, v9
	v_fmamk_f32 v26, v14, 0xbf5db3d7, v8
	s_and_saveexec_b32 s1, s0
	s_cbranch_execz .LBB0_11
; %bb.10:
	v_dual_mul_f32 v15, 0x3f5db3d7, v15 :: v_dual_mul_f32 v14, 0x3f5db3d7, v14
	v_dual_add_f32 v13, v13, v18 :: v_dual_add_f32 v16, v12, v16
	v_mul_u32_u24_e32 v17, 21, v44
	s_delay_alu instid0(VALU_DEP_3) | instskip(NEXT) | instid1(VALU_DEP_3)
	v_dual_sub_f32 v9, v9, v15 :: v_dual_add_f32 v8, v14, v8
	v_dual_add_f32 v12, v13, v10 :: v_dual_add_f32 v11, v16, v11
	s_delay_alu instid0(VALU_DEP_3)
	v_add_lshl_u32 v10, v17, v41, 3
	ds_store_2addr_b64 v10, v[11:12], v[8:9] offset1:7
	ds_store_b64 v10, v[26:27] offset:112
.LBB0_11:
	s_wait_alu 0xfffe
	s_or_b32 exec_lo, exec_lo, s1
	v_mul_lo_u16 v8, 0x87, v20
	global_wb scope:SCOPE_SE
	s_wait_dscnt 0x0
	s_barrier_signal -1
	s_barrier_wait -1
	global_inv scope:SCOPE_SE
	v_lshrrev_b16 v8, 8, v8
	s_delay_alu instid0(VALU_DEP_1) | instskip(NEXT) | instid1(VALU_DEP_1)
	v_sub_nc_u16 v9, v39, v8
	v_lshrrev_b16 v9, 1, v9
	s_delay_alu instid0(VALU_DEP_1) | instskip(NEXT) | instid1(VALU_DEP_1)
	v_and_b32_e32 v9, 0x7f, v9
	v_add_nc_u16 v8, v9, v8
	s_delay_alu instid0(VALU_DEP_1) | instskip(NEXT) | instid1(VALU_DEP_1)
	v_lshrrev_b16 v8, 4, v8
	v_and_b32_e32 v24, 15, v8
	s_delay_alu instid0(VALU_DEP_1) | instskip(NEXT) | instid1(VALU_DEP_1)
	v_mul_lo_u16 v8, v24, 21
	v_sub_nc_u16 v8, v39, v8
	s_delay_alu instid0(VALU_DEP_1) | instskip(NEXT) | instid1(VALU_DEP_1)
	v_and_b32_e32 v28, 0xff, v8
	v_lshlrev_b32_e32 v8, 5, v28
	s_clause 0x1
	global_load_b128 v[12:15], v8, s[2:3] offset:112
	global_load_b128 v[8:11], v8, s[2:3] offset:128
	v_add_nc_u32_e32 v46, 0x800, v40
	ds_load_2addr_b64 v[16:19], v40 offset0:105 offset1:210
	ds_load_2addr_b64 v[20:23], v46 offset0:59 offset1:164
	s_wait_loadcnt_dscnt 0x101
	v_dual_mul_f32 v31, v19, v15 :: v_dual_and_b32 v24, 0xffff, v24
	s_wait_loadcnt_dscnt 0x0
	v_mul_f32_e32 v47, v22, v11
	s_delay_alu instid0(VALU_DEP_2)
	v_mul_u32_u24_e32 v29, 0x69, v24
	ds_load_b64 v[24:25], v40
	v_dual_mul_f32 v33, v21, v9 :: v_dual_mul_f32 v32, v18, v15
	v_mul_f32_e32 v35, v23, v11
	v_add_lshl_u32 v45, v29, v28, 3
	v_dual_mul_f32 v28, v17, v13 :: v_dual_fmac_f32 v47, v23, v10
	v_dual_mul_f32 v29, v16, v13 :: v_dual_lshlrev_b32 v30, 5, v39
	s_delay_alu instid0(VALU_DEP_4) | instskip(NEXT) | instid1(VALU_DEP_3)
	v_fma_f32 v22, v22, v10, -v35
	v_fma_f32 v16, v16, v12, -v28
	s_delay_alu instid0(VALU_DEP_3)
	v_dual_fmac_f32 v32, v19, v14 :: v_dual_fmac_f32 v29, v17, v12
	v_mul_f32_e32 v34, v20, v9
	v_fma_f32 v17, v18, v14, -v31
	v_fma_f32 v18, v20, v8, -v33
	global_wb scope:SCOPE_SE
	s_wait_dscnt 0x0
	v_sub_f32_e32 v23, v29, v47
	v_dual_fmac_f32 v34, v21, v8 :: v_dual_sub_f32 v21, v16, v17
	v_dual_add_f32 v19, v24, v16 :: v_dual_add_f32 v20, v17, v18
	s_delay_alu instid0(VALU_DEP_2)
	v_dual_add_f32 v33, v16, v22 :: v_dual_sub_f32 v56, v34, v47
	v_dual_sub_f32 v28, v32, v34 :: v_dual_sub_f32 v35, v17, v16
	v_dual_sub_f32 v48, v18, v22 :: v_dual_add_f32 v49, v25, v29
	v_dual_add_f32 v50, v32, v34 :: v_dual_sub_f32 v53, v29, v32
	v_sub_f32_e32 v51, v16, v22
	v_dual_sub_f32 v52, v17, v18 :: v_dual_add_f32 v19, v19, v17
	v_dual_sub_f32 v54, v47, v34 :: v_dual_add_f32 v55, v29, v47
	v_sub_f32_e32 v29, v32, v29
	v_fma_f32 v16, -0.5, v20, v24
	v_sub_f32_e32 v31, v22, v18
	v_fma_f32 v24, -0.5, v33, v24
	v_add_f32_e32 v33, v35, v48
	v_add_f32_e32 v35, v19, v18
	s_delay_alu instid0(VALU_DEP_4) | instskip(NEXT) | instid1(VALU_DEP_4)
	v_dual_fmamk_f32 v18, v23, 0x3f737871, v16 :: v_dual_add_f32 v31, v21, v31
	v_fmamk_f32 v20, v28, 0xbf737871, v24
	v_fma_f32 v17, -0.5, v50, v25
	v_dual_fmac_f32 v25, -0.5, v55 :: v_dual_fmac_f32 v24, 0x3f737871, v28
	s_delay_alu instid0(VALU_DEP_4) | instskip(SKIP_1) | instid1(VALU_DEP_4)
	v_fmac_f32_e32 v18, 0x3f167918, v28
	v_dual_add_f32 v21, v49, v32 :: v_dual_add_f32 v22, v35, v22
	v_dual_fmac_f32 v16, 0xbf737871, v23 :: v_dual_fmamk_f32 v19, v51, 0xbf737871, v17
	s_delay_alu instid0(VALU_DEP_2) | instskip(SKIP_2) | instid1(VALU_DEP_4)
	v_dual_fmac_f32 v17, 0x3f737871, v51 :: v_dual_add_f32 v34, v21, v34
	v_fmamk_f32 v21, v52, 0x3f737871, v25
	v_dual_fmac_f32 v25, 0xbf737871, v52 :: v_dual_add_f32 v32, v53, v54
	v_dual_fmac_f32 v24, 0xbf167918, v23 :: v_dual_fmac_f32 v19, 0xbf167918, v52
	v_dual_add_f32 v29, v29, v56 :: v_dual_fmac_f32 v20, 0x3f167918, v23
	v_dual_fmac_f32 v16, 0xbf167918, v28 :: v_dual_add_f32 v23, v34, v47
	v_fmac_f32_e32 v21, 0xbf167918, v51
	v_fmac_f32_e32 v25, 0x3f167918, v51
	;; [unrolled: 1-line block ×3, first 2 shown]
	v_dual_fmac_f32 v18, 0x3e9e377a, v31 :: v_dual_fmac_f32 v19, 0x3e9e377a, v32
	s_delay_alu instid0(VALU_DEP_4) | instskip(NEXT) | instid1(VALU_DEP_3)
	v_dual_fmac_f32 v16, 0x3e9e377a, v31 :: v_dual_fmac_f32 v21, 0x3e9e377a, v29
	v_dual_fmac_f32 v20, 0x3e9e377a, v33 :: v_dual_fmac_f32 v17, 0x3e9e377a, v32
	v_fmac_f32_e32 v24, 0x3e9e377a, v33
	v_fmac_f32_e32 v25, 0x3e9e377a, v29
	s_barrier_signal -1
	s_barrier_wait -1
	global_inv scope:SCOPE_SE
	ds_store_2addr_b64 v45, v[22:23], v[18:19] offset1:21
	ds_store_2addr_b64 v45, v[20:21], v[24:25] offset0:42 offset1:63
	ds_store_b64 v45, v[16:17] offset:672
	global_wb scope:SCOPE_SE
	s_wait_dscnt 0x0
	s_barrier_signal -1
	s_barrier_wait -1
	global_inv scope:SCOPE_SE
	s_clause 0x1
	global_load_b128 v[20:23], v30, s[2:3] offset:784
	global_load_b128 v[16:19], v30, s[2:3] offset:800
	ds_load_2addr_b64 v[32:35], v40 offset0:105 offset1:210
	ds_load_2addr_b64 v[48:51], v46 offset0:59 offset1:164
	ds_load_b64 v[30:31], v40
	s_wait_loadcnt_dscnt 0x102
	v_mul_f32_e32 v24, v33, v21
	v_mul_f32_e32 v28, v35, v23
	s_wait_loadcnt_dscnt 0x1
	v_dual_mul_f32 v29, v34, v23 :: v_dual_mul_f32 v52, v49, v17
	v_mul_f32_e32 v54, v51, v19
	v_fma_f32 v24, v32, v20, -v24
	v_fma_f32 v28, v34, v22, -v28
	s_wait_dscnt 0x0
	s_delay_alu instid0(VALU_DEP_2) | instskip(SKIP_2) | instid1(VALU_DEP_3)
	v_dual_add_f32 v34, v30, v24 :: v_dual_mul_f32 v25, v32, v21
	v_fma_f32 v32, v48, v16, -v52
	v_fmac_f32_e32 v29, v35, v22
	v_fmac_f32_e32 v25, v33, v20
	v_fma_f32 v33, v50, v18, -v54
	v_dual_mul_f32 v55, v50, v19 :: v_dual_sub_f32 v50, v24, v28
	v_sub_f32_e32 v54, v28, v24
	v_sub_f32_e32 v60, v28, v32
	s_delay_alu instid0(VALU_DEP_3) | instskip(SKIP_4) | instid1(VALU_DEP_4)
	v_dual_add_f32 v52, v24, v33 :: v_dual_fmac_f32 v55, v51, v18
	v_sub_f32_e32 v51, v33, v32
	v_mul_f32_e32 v53, v48, v17
	v_sub_f32_e32 v56, v32, v33
	v_sub_f32_e32 v64, v29, v25
	v_add_f32_e32 v50, v50, v51
	s_delay_alu instid0(VALU_DEP_3) | instskip(SKIP_1) | instid1(VALU_DEP_1)
	v_add_f32_e32 v51, v54, v56
	v_fmac_f32_e32 v53, v49, v16
	v_add_f32_e32 v58, v29, v53
	v_sub_f32_e32 v65, v53, v55
	v_dual_sub_f32 v48, v25, v55 :: v_dual_add_nc_u32 v47, 0x400, v40
	v_sub_f32_e32 v59, v24, v33
	s_delay_alu instid0(VALU_DEP_3) | instskip(SKIP_2) | instid1(VALU_DEP_2)
	v_add_f32_e32 v54, v64, v65
	v_dual_add_f32 v35, v28, v32 :: v_dual_sub_f32 v62, v55, v53
	v_dual_add_f32 v28, v34, v28 :: v_dual_sub_f32 v49, v29, v53
	v_fma_f32 v24, -0.5, v35, v30
	v_fma_f32 v30, -0.5, v52, v30
	s_delay_alu instid0(VALU_DEP_3) | instskip(NEXT) | instid1(VALU_DEP_3)
	v_dual_add_f32 v32, v28, v32 :: v_dual_add_f32 v63, v25, v55
	v_fmamk_f32 v34, v48, 0x3f737871, v24
	v_fmac_f32_e32 v24, 0xbf737871, v48
	s_delay_alu instid0(VALU_DEP_4)
	v_fmamk_f32 v28, v49, 0xbf737871, v30
	v_sub_f32_e32 v61, v25, v29
	v_fmac_f32_e32 v30, 0x3f737871, v49
	v_fmac_f32_e32 v34, 0x3f167918, v49
	v_add_f32_e32 v32, v32, v33
	v_dual_fmac_f32 v28, 0x3f167918, v48 :: v_dual_add_f32 v57, v31, v25
	v_add_f32_e32 v52, v61, v62
	v_fma_f32 v25, -0.5, v58, v31
	v_dual_fmac_f32 v31, -0.5, v63 :: v_dual_fmac_f32 v30, 0xbf167918, v48
	s_delay_alu instid0(VALU_DEP_4) | instskip(NEXT) | instid1(VALU_DEP_3)
	v_dual_add_f32 v29, v57, v29 :: v_dual_fmac_f32 v34, 0x3e9e377a, v50
	v_fmamk_f32 v35, v59, 0xbf737871, v25
	v_fmac_f32_e32 v25, 0x3f737871, v59
	s_delay_alu instid0(VALU_DEP_3) | instskip(SKIP_3) | instid1(VALU_DEP_4)
	v_add_f32_e32 v53, v29, v53
	v_fmamk_f32 v29, v60, 0x3f737871, v31
	v_fmac_f32_e32 v31, 0xbf737871, v60
	v_dual_fmac_f32 v24, 0xbf167918, v49 :: v_dual_fmac_f32 v35, 0xbf167918, v60
	v_add_f32_e32 v33, v53, v55
	v_fmac_f32_e32 v25, 0x3f167918, v60
	v_fmac_f32_e32 v29, 0xbf167918, v59
	;; [unrolled: 1-line block ×3, first 2 shown]
	v_dual_fmac_f32 v24, 0x3e9e377a, v50 :: v_dual_fmac_f32 v35, 0x3e9e377a, v52
	s_delay_alu instid0(VALU_DEP_3) | instskip(NEXT) | instid1(VALU_DEP_3)
	v_dual_fmac_f32 v28, 0x3e9e377a, v51 :: v_dual_fmac_f32 v29, 0x3e9e377a, v54
	v_dual_fmac_f32 v30, 0x3e9e377a, v51 :: v_dual_fmac_f32 v31, 0x3e9e377a, v54
	v_fmac_f32_e32 v25, 0x3e9e377a, v52
	ds_store_b64 v40, v[32:33]
	ds_store_b64 v40, v[34:35] offset:840
	ds_store_2addr_b64 v47, v[28:29], v[30:31] offset0:82 offset1:187
	ds_store_b64 v40, v[24:25] offset:3360
	global_wb scope:SCOPE_SE
	s_wait_dscnt 0x0
	s_barrier_signal -1
	s_barrier_wait -1
	global_inv scope:SCOPE_SE
	s_and_saveexec_b32 s1, vcc_lo
	s_cbranch_execz .LBB0_13
; %bb.12:
	global_load_b64 v[48:49], v40, s[12:13] offset:4200
	s_add_nc_u64 s[2:3], s[12:13], 0x1068
	s_clause 0x5
	global_load_b64 v[60:61], v40, s[2:3] offset:600
	global_load_b64 v[62:63], v40, s[2:3] offset:1200
	;; [unrolled: 1-line block ×6, first 2 shown]
	ds_load_b64 v[50:51], v40
	s_wait_loadcnt_dscnt 0x600
	v_mul_f32_e32 v52, v51, v49
	v_mul_f32_e32 v53, v50, v49
	s_delay_alu instid0(VALU_DEP_2) | instskip(NEXT) | instid1(VALU_DEP_2)
	v_fma_f32 v52, v50, v48, -v52
	v_fmac_f32_e32 v53, v51, v48
	ds_store_b64 v40, v[52:53]
	ds_load_2addr_b64 v[48:51], v40 offset0:75 offset1:150
	ds_load_2addr_b64 v[52:55], v47 offset0:97 offset1:172
	;; [unrolled: 1-line block ×3, first 2 shown]
	s_wait_loadcnt_dscnt 0x502
	v_mul_f32_e32 v72, v48, v61
	s_wait_loadcnt_dscnt 0x201
	v_dual_mul_f32 v73, v49, v61 :: v_dual_mul_f32 v76, v55, v67
	v_mul_f32_e32 v74, v51, v63
	v_mul_f32_e32 v61, v50, v63
	s_wait_loadcnt_dscnt 0x0
	v_dual_mul_f32 v75, v53, v65 :: v_dual_mul_f32 v78, v59, v71
	v_dual_mul_f32 v63, v52, v65 :: v_dual_fmac_f32 v72, v49, v60
	v_mul_f32_e32 v65, v54, v67
	v_mul_f32_e32 v77, v57, v69
	;; [unrolled: 1-line block ×4, first 2 shown]
	v_fma_f32 v71, v48, v60, -v73
	v_fma_f32 v60, v50, v62, -v74
	v_fmac_f32_e32 v61, v51, v62
	v_fma_f32 v62, v52, v64, -v75
	v_fmac_f32_e32 v63, v53, v64
	;; [unrolled: 2-line block ×5, first 2 shown]
	ds_store_2addr_b64 v40, v[71:72], v[60:61] offset0:75 offset1:150
	ds_store_2addr_b64 v47, v[62:63], v[64:65] offset0:97 offset1:172
	;; [unrolled: 1-line block ×3, first 2 shown]
.LBB0_13:
	s_wait_alu 0xfffe
	s_or_b32 exec_lo, exec_lo, s1
	global_wb scope:SCOPE_SE
	s_wait_dscnt 0x0
	s_barrier_signal -1
	s_barrier_wait -1
	global_inv scope:SCOPE_SE
	s_and_saveexec_b32 s1, vcc_lo
	s_cbranch_execz .LBB0_15
; %bb.14:
	v_add_nc_u32_e32 v24, 0x800, v40
	ds_load_2addr_b64 v[32:35], v40 offset1:75
	ds_load_2addr_b64 v[28:31], v40 offset0:150 offset1:225
	ds_load_2addr_b64 v[24:27], v24 offset0:44 offset1:119
	ds_load_b64 v[37:38], v40 offset:3600
.LBB0_15:
	s_wait_alu 0xfffe
	s_or_b32 exec_lo, exec_lo, s1
	s_wait_dscnt 0x0
	v_dual_add_f32 v46, v37, v34 :: v_dual_add_f32 v47, v38, v35
	v_dual_sub_f32 v34, v34, v37 :: v_dual_sub_f32 v35, v35, v38
	v_dual_add_f32 v37, v26, v28 :: v_dual_add_f32 v38, v27, v29
	v_dual_sub_f32 v26, v28, v26 :: v_dual_sub_f32 v27, v29, v27
	;; [unrolled: 2-line block ×3, first 2 shown]
	s_delay_alu instid0(VALU_DEP_4) | instskip(SKIP_1) | instid1(VALU_DEP_4)
	v_dual_add_f32 v48, v37, v46 :: v_dual_add_f32 v49, v38, v47
	v_dual_sub_f32 v55, v37, v46 :: v_dual_sub_f32 v56, v38, v47
	v_dual_sub_f32 v46, v46, v28 :: v_dual_sub_f32 v47, v47, v29
	s_delay_alu instid0(VALU_DEP_4)
	v_dual_add_f32 v50, v24, v26 :: v_dual_add_f32 v51, v25, v27
	v_dual_sub_f32 v52, v24, v26 :: v_dual_sub_f32 v57, v25, v27
	v_dual_sub_f32 v30, v34, v24 :: v_dual_sub_f32 v31, v35, v25
	v_dual_sub_f32 v24, v26, v34 :: v_dual_add_f32 v25, v28, v48
	v_dual_add_f32 v26, v29, v49 :: v_dual_sub_f32 v27, v27, v35
	v_dual_sub_f32 v37, v28, v37 :: v_dual_sub_f32 v38, v29, v38
	v_add_f32_e32 v54, v50, v34
	s_delay_alu instid0(VALU_DEP_3) | instskip(SKIP_3) | instid1(VALU_DEP_3)
	v_dual_add_f32 v50, v51, v35 :: v_dual_add_f32 v29, v33, v26
	v_dual_add_f32 v28, v32, v25 :: v_dual_mul_f32 v35, 0x3f4a47b2, v46
	v_mul_f32_e32 v51, 0x3f4a47b2, v47
	v_dual_mul_f32 v32, 0xbf5ff5aa, v24 :: v_dual_mul_f32 v33, 0xbf5ff5aa, v27
	v_fmamk_f32 v49, v25, 0xbf955555, v28
	v_mul_f32_e32 v48, 0x3f08b237, v52
	v_fmamk_f32 v52, v26, 0xbf955555, v29
	v_fma_f32 v46, 0xbf3bfb3b, v55, -v35
	v_mul_f32_e32 v53, 0x3d64c772, v38
	v_fma_f32 v47, 0x3eae86e6, v30, -v32
	v_fma_f32 v34, 0x3eae86e6, v31, -v33
	global_wb scope:SCOPE_SE
	v_add_f32_e32 v46, v46, v49
	v_fma_f32 v26, 0x3f3bfb3b, v56, -v53
	v_mul_f32_e32 v37, 0x3d64c772, v37
	v_fmac_f32_e32 v34, 0xbee1c552, v50
	s_barrier_signal -1
	s_barrier_wait -1
	v_add_f32_e32 v26, v26, v52
	v_fma_f32 v25, 0x3f3bfb3b, v55, -v37
	v_fma_f32 v55, 0xbf3bfb3b, v56, -v51
	v_mul_f32_e32 v38, 0x3f08b237, v57
	global_inv scope:SCOPE_SE
	v_add_f32_e32 v25, v25, v49
	v_add_f32_e32 v55, v55, v52
	v_fma_f32 v56, 0xbf5ff5aa, v24, -v48
	v_fma_f32 v24, 0xbf5ff5aa, v27, -v38
	v_fmac_f32_e32 v47, 0xbee1c552, v54
	s_delay_alu instid0(VALU_DEP_1) | instskip(NEXT) | instid1(VALU_DEP_3)
	v_dual_fmac_f32 v56, 0xbee1c552, v54 :: v_dual_add_f32 v27, v47, v55
	v_fmac_f32_e32 v24, 0xbee1c552, v50
	s_delay_alu instid0(VALU_DEP_1)
	v_dual_add_f32 v33, v56, v26 :: v_dual_sub_f32 v32, v25, v24
	v_dual_add_f32 v24, v24, v25 :: v_dual_sub_f32 v25, v26, v56
	v_sub_f32_e32 v26, v46, v34
	s_and_saveexec_b32 s1, vcc_lo
	s_cbranch_execz .LBB0_17
; %bb.16:
	v_dual_mul_f32 v30, 0xbeae86e6, v30 :: v_dual_mul_f32 v31, 0xbeae86e6, v31
	v_dual_mul_f32 v54, 0xbee1c552, v54 :: v_dual_add_f32 v51, v53, v51
	v_dual_mul_f32 v50, 0xbee1c552, v50 :: v_dual_add_f32 v35, v37, v35
	s_delay_alu instid0(VALU_DEP_3) | instskip(NEXT) | instid1(VALU_DEP_3)
	v_dual_add_f32 v30, v48, v30 :: v_dual_add_f32 v31, v38, v31
	v_add_f32_e32 v48, v51, v52
	s_delay_alu instid0(VALU_DEP_3) | instskip(NEXT) | instid1(VALU_DEP_3)
	v_add_f32_e32 v49, v35, v49
	v_add_f32_e32 v35, v54, v30
	s_delay_alu instid0(VALU_DEP_4) | instskip(SKIP_1) | instid1(VALU_DEP_2)
	v_add_f32_e32 v50, v50, v31
	v_dual_sub_f32 v31, v55, v47 :: v_dual_and_b32 v30, 0xffff, v42
	v_dual_sub_f32 v38, v48, v35 :: v_dual_add_f32 v37, v49, v50
	s_delay_alu instid0(VALU_DEP_2)
	v_dual_add_f32 v35, v35, v48 :: v_dual_lshlrev_b32 v42, 3, v30
	v_add_f32_e32 v30, v34, v46
	v_sub_f32_e32 v34, v49, v50
	ds_store_2addr_b64 v42, v[28:29], v[37:38] offset1:1
	ds_store_2addr_b64 v42, v[30:31], v[32:33] offset0:2 offset1:3
	ds_store_2addr_b64 v42, v[24:25], v[26:27] offset0:4 offset1:5
	ds_store_b64 v42, v[34:35] offset:48
.LBB0_17:
	s_wait_alu 0xfffe
	s_or_b32 exec_lo, exec_lo, s1
	global_wb scope:SCOPE_SE
	s_wait_dscnt 0x0
	s_barrier_signal -1
	s_barrier_wait -1
	global_inv scope:SCOPE_SE
	ds_load_2addr_b64 v[28:31], v40 offset1:175
	ds_load_b64 v[34:35], v40 offset:2800
	s_and_saveexec_b32 s1, s0
	s_cbranch_execz .LBB0_19
; %bb.18:
	v_add_nc_u32_e32 v24, 0x800, v40
	ds_load_b64 v[32:33], v40 offset:840
	ds_load_2addr_b64 v[24:27], v24 offset0:24 offset1:199
.LBB0_19:
	s_wait_alu 0xfffe
	s_or_b32 exec_lo, exec_lo, s1
	s_wait_dscnt 0x0
	v_mul_f32_e32 v38, v7, v35
	v_mul_f32_e32 v37, v5, v31
	;; [unrolled: 1-line block ×3, first 2 shown]
	global_wb scope:SCOPE_SE
	s_barrier_signal -1
	v_fmac_f32_e32 v38, v6, v34
	v_fmac_f32_e32 v37, v4, v30
	v_mul_f32_e32 v7, v7, v34
	v_fma_f32 v4, v4, v31, -v5
	s_barrier_wait -1
	global_inv scope:SCOPE_SE
	v_fma_f32 v7, v6, v35, -v7
	v_add_f32_e32 v34, v29, v4
	v_dual_add_f32 v6, v28, v37 :: v_dual_add_f32 v5, v37, v38
	s_delay_alu instid0(VALU_DEP_3) | instskip(NEXT) | instid1(VALU_DEP_2)
	v_add_f32_e32 v30, v4, v7
	v_dual_sub_f32 v31, v4, v7 :: v_dual_add_f32 v6, v6, v38
	s_delay_alu instid0(VALU_DEP_3) | instskip(SKIP_1) | instid1(VALU_DEP_4)
	v_fma_f32 v4, -0.5, v5, v28
	v_sub_f32_e32 v35, v37, v38
	v_fma_f32 v5, -0.5, v30, v29
	s_delay_alu instid0(VALU_DEP_3) | instskip(NEXT) | instid1(VALU_DEP_2)
	v_dual_add_f32 v7, v34, v7 :: v_dual_fmamk_f32 v28, v31, 0xbf5db3d7, v4
	v_dual_fmac_f32 v4, 0x3f5db3d7, v31 :: v_dual_fmamk_f32 v29, v35, 0x3f5db3d7, v5
	v_fmac_f32_e32 v5, 0xbf5db3d7, v35
	ds_store_2addr_b64 v43, v[6:7], v[28:29] offset1:7
	ds_store_b64 v43, v[4:5] offset:112
	s_and_saveexec_b32 s1, s0
	s_cbranch_execz .LBB0_21
; %bb.20:
	v_dual_mul_f32 v4, v1, v25 :: v_dual_mul_f32 v5, v3, v26
	v_dual_mul_f32 v1, v1, v24 :: v_dual_mul_f32 v6, v3, v27
	s_delay_alu instid0(VALU_DEP_2) | instskip(NEXT) | instid1(VALU_DEP_3)
	v_fma_f32 v3, v2, v27, -v5
	v_fmac_f32_e32 v4, v0, v24
	s_delay_alu instid0(VALU_DEP_3) | instskip(NEXT) | instid1(VALU_DEP_4)
	v_fma_f32 v0, v0, v25, -v1
	v_fmac_f32_e32 v6, v2, v26
	v_mul_u32_u24_e32 v25, 21, v44
	s_delay_alu instid0(VALU_DEP_3) | instskip(SKIP_1) | instid1(VALU_DEP_2)
	v_dual_add_f32 v1, v3, v0 :: v_dual_sub_f32 v24, v0, v3
	v_add_f32_e32 v5, v33, v0
	v_fma_f32 v1, -0.5, v1, v33
	s_delay_alu instid0(VALU_DEP_2) | instskip(SKIP_1) | instid1(VALU_DEP_2)
	v_dual_add_f32 v3, v3, v5 :: v_dual_add_f32 v2, v6, v4
	v_sub_f32_e32 v7, v4, v6
	v_fma_f32 v0, -0.5, v2, v32
	s_delay_alu instid0(VALU_DEP_2) | instskip(NEXT) | instid1(VALU_DEP_2)
	v_dual_add_f32 v2, v32, v4 :: v_dual_fmamk_f32 v5, v7, 0x3f5db3d7, v1
	v_dual_fmac_f32 v1, 0xbf5db3d7, v7 :: v_dual_fmamk_f32 v4, v24, 0xbf5db3d7, v0
	s_delay_alu instid0(VALU_DEP_2)
	v_add_f32_e32 v2, v6, v2
	v_add_lshl_u32 v6, v25, v41, 3
	v_fmac_f32_e32 v0, 0x3f5db3d7, v24
	ds_store_2addr_b64 v6, v[2:3], v[4:5] offset1:7
	ds_store_b64 v6, v[0:1] offset:112
.LBB0_21:
	s_wait_alu 0xfffe
	s_or_b32 exec_lo, exec_lo, s1
	global_wb scope:SCOPE_SE
	s_wait_dscnt 0x0
	s_barrier_signal -1
	s_barrier_wait -1
	global_inv scope:SCOPE_SE
	ds_load_2addr_b64 v[1:4], v40 offset0:105 offset1:210
	s_wait_dscnt 0x0
	v_dual_mul_f32 v7, v13, v2 :: v_dual_add_nc_u32 v0, 0x800, v40
	ds_load_2addr_b64 v[24:27], v0 offset0:59 offset1:164
	ds_load_b64 v[5:6], v40
	v_dual_mul_f32 v13, v13, v1 :: v_dual_mul_f32 v28, v15, v4
	global_wb scope:SCOPE_SE
	s_wait_dscnt 0x0
	v_fmac_f32_e32 v7, v12, v1
	s_barrier_signal -1
	v_fma_f32 v12, v12, v2, -v13
	v_fmac_f32_e32 v28, v14, v3
	v_mul_f32_e32 v15, v15, v3
	s_barrier_wait -1
	global_inv scope:SCOPE_SE
	v_fma_f32 v14, v14, v4, -v15
	v_dual_mul_f32 v13, v9, v25 :: v_dual_mul_f32 v2, v11, v26
	v_add_f32_e32 v4, v6, v12
	s_delay_alu instid0(VALU_DEP_2) | instskip(SKIP_4) | instid1(VALU_DEP_3)
	v_fmac_f32_e32 v13, v8, v24
	v_mul_f32_e32 v1, v9, v24
	v_mul_f32_e32 v9, v11, v27
	v_fma_f32 v11, v10, v27, -v2
	v_dual_sub_f32 v2, v7, v28 :: v_dual_add_f32 v29, v4, v14
	v_fmac_f32_e32 v9, v10, v26
	s_delay_alu instid0(VALU_DEP_1)
	v_dual_sub_f32 v3, v28, v7 :: v_dual_sub_f32 v30, v7, v9
	v_add_f32_e32 v26, v7, v9
	v_add_f32_e32 v10, v28, v13
	v_fma_f32 v8, v8, v25, -v1
	v_add_f32_e32 v1, v5, v7
	v_sub_f32_e32 v25, v9, v13
	s_delay_alu instid0(VALU_DEP_3) | instskip(NEXT) | instid1(VALU_DEP_3)
	v_dual_sub_f32 v27, v13, v9 :: v_dual_add_f32 v4, v14, v8
	v_add_f32_e32 v1, v1, v28
	s_delay_alu instid0(VALU_DEP_1)
	v_dual_sub_f32 v24, v14, v8 :: v_dual_add_f32 v7, v1, v13
	v_fma_f32 v1, -0.5, v10, v5
	v_add_f32_e32 v10, v2, v25
	v_fma_f32 v2, -0.5, v4, v6
	v_sub_f32_e32 v15, v12, v11
	v_add_f32_e32 v25, v3, v27
	v_sub_f32_e32 v13, v28, v13
	v_fma_f32 v5, -0.5, v26, v5
	v_fmamk_f32 v4, v30, 0x3f737871, v2
	v_fmamk_f32 v3, v15, 0xbf737871, v1
	v_fmac_f32_e32 v1, 0x3f737871, v15
	v_dual_fmac_f32 v2, 0xbf737871, v30 :: v_dual_add_f32 v7, v7, v9
	s_delay_alu instid0(VALU_DEP_3) | instskip(NEXT) | instid1(VALU_DEP_3)
	v_fmac_f32_e32 v3, 0xbf167918, v24
	v_fmac_f32_e32 v1, 0x3f167918, v24
	s_delay_alu instid0(VALU_DEP_3) | instskip(NEXT) | instid1(VALU_DEP_3)
	v_fmac_f32_e32 v2, 0xbf167918, v13
	v_fmac_f32_e32 v3, 0x3e9e377a, v10
	s_delay_alu instid0(VALU_DEP_3) | instskip(NEXT) | instid1(VALU_DEP_1)
	v_dual_fmac_f32 v1, 0x3e9e377a, v10 :: v_dual_add_f32 v10, v12, v11
	v_dual_fmac_f32 v6, -0.5, v10 :: v_dual_fmamk_f32 v9, v24, 0x3f737871, v5
	v_dual_fmac_f32 v5, 0xbf737871, v24 :: v_dual_sub_f32 v24, v12, v14
	v_sub_f32_e32 v12, v14, v12
	s_delay_alu instid0(VALU_DEP_3) | instskip(SKIP_2) | instid1(VALU_DEP_3)
	v_fmamk_f32 v10, v13, 0xbf737871, v6
	v_fmac_f32_e32 v6, 0x3f737871, v13
	v_fmac_f32_e32 v9, 0xbf167918, v15
	v_dual_fmac_f32 v5, 0x3f167918, v15 :: v_dual_fmac_f32 v10, 0x3f167918, v30
	s_delay_alu instid0(VALU_DEP_3) | instskip(SKIP_1) | instid1(VALU_DEP_4)
	v_fmac_f32_e32 v6, 0xbf167918, v30
	v_fmac_f32_e32 v4, 0x3f167918, v13
	;; [unrolled: 1-line block ×3, first 2 shown]
	s_delay_alu instid0(VALU_DEP_4) | instskip(SKIP_2) | instid1(VALU_DEP_2)
	v_fmac_f32_e32 v5, 0x3e9e377a, v25
	v_sub_f32_e32 v25, v11, v8
	v_dual_add_f32 v15, v29, v8 :: v_dual_sub_f32 v8, v8, v11
	v_add_f32_e32 v14, v24, v25
	s_delay_alu instid0(VALU_DEP_2) | instskip(NEXT) | instid1(VALU_DEP_3)
	v_add_f32_e32 v12, v12, v8
	v_add_f32_e32 v8, v15, v11
	s_delay_alu instid0(VALU_DEP_3) | instskip(SKIP_1) | instid1(VALU_DEP_4)
	v_fmac_f32_e32 v4, 0x3e9e377a, v14
	v_fmac_f32_e32 v2, 0x3e9e377a, v14
	;; [unrolled: 1-line block ×4, first 2 shown]
	ds_store_2addr_b64 v45, v[7:8], v[3:4] offset1:21
	ds_store_2addr_b64 v45, v[9:10], v[5:6] offset0:42 offset1:63
	ds_store_b64 v45, v[1:2] offset:672
	global_wb scope:SCOPE_SE
	s_wait_dscnt 0x0
	s_barrier_signal -1
	s_barrier_wait -1
	global_inv scope:SCOPE_SE
	ds_load_2addr_b64 v[1:4], v40 offset0:105 offset1:210
	ds_load_2addr_b64 v[5:8], v0 offset0:59 offset1:164
	ds_load_b64 v[9:10], v40
	s_wait_dscnt 0x2
	v_mul_f32_e32 v11, v21, v1
	v_mul_f32_e32 v14, v21, v2
	s_wait_dscnt 0x1
	v_dual_mul_f32 v12, v23, v4 :: v_dual_mul_f32 v13, v17, v6
	s_delay_alu instid0(VALU_DEP_2) | instskip(NEXT) | instid1(VALU_DEP_2)
	v_dual_fmac_f32 v14, v20, v1 :: v_dual_mul_f32 v15, v19, v7
	v_dual_fmac_f32 v12, v22, v3 :: v_dual_fmac_f32 v13, v16, v5
	v_fma_f32 v1, v20, v2, -v11
	s_delay_alu instid0(VALU_DEP_3) | instskip(SKIP_1) | instid1(VALU_DEP_4)
	v_fma_f32 v15, v18, v8, -v15
	v_mul_f32_e32 v8, v19, v8
	v_dual_mul_f32 v3, v23, v3 :: v_dual_add_f32 v2, v12, v13
	s_delay_alu instid0(VALU_DEP_2) | instskip(NEXT) | instid1(VALU_DEP_2)
	v_fmac_f32_e32 v8, v18, v7
	v_fma_f32 v20, v22, v4, -v3
	v_mul_f32_e32 v3, v17, v5
	s_wait_dscnt 0x0
	v_add_f32_e32 v4, v9, v14
	v_fma_f32 v2, -0.5, v2, v9
	v_sub_f32_e32 v5, v1, v15
	v_sub_f32_e32 v18, v13, v8
	v_fma_f32 v16, v16, v6, -v3
	v_add_f32_e32 v6, v14, v8
	s_delay_alu instid0(VALU_DEP_4) | instskip(NEXT) | instid1(VALU_DEP_3)
	v_dual_add_f32 v3, v4, v12 :: v_dual_fmamk_f32 v4, v5, 0xbf737871, v2
	v_dual_fmac_f32 v2, 0x3f737871, v5 :: v_dual_sub_f32 v7, v20, v16
	v_sub_f32_e32 v11, v14, v12
	v_sub_f32_e32 v17, v8, v13
	s_delay_alu instid0(VALU_DEP_4) | instskip(SKIP_2) | instid1(VALU_DEP_4)
	v_add_f32_e32 v3, v3, v13
	v_fma_f32 v9, -0.5, v6, v9
	v_fmac_f32_e32 v4, 0xbf167918, v7
	v_dual_fmac_f32 v2, 0x3f167918, v7 :: v_dual_add_f32 v17, v11, v17
	s_delay_alu instid0(VALU_DEP_4) | instskip(SKIP_2) | instid1(VALU_DEP_4)
	v_add_f32_e32 v11, v3, v8
	v_sub_f32_e32 v8, v14, v8
	v_dual_fmamk_f32 v6, v7, 0x3f737871, v9 :: v_dual_add_f32 v3, v20, v16
	v_fmac_f32_e32 v4, 0x3e9e377a, v17
	v_dual_fmac_f32 v2, 0x3e9e377a, v17 :: v_dual_sub_f32 v17, v12, v14
	v_fmac_f32_e32 v9, 0xbf737871, v7
	s_delay_alu instid0(VALU_DEP_4) | instskip(NEXT) | instid1(VALU_DEP_3)
	v_fma_f32 v3, -0.5, v3, v10
	v_dual_sub_f32 v13, v12, v13 :: v_dual_add_f32 v14, v17, v18
	v_add_f32_e32 v7, v10, v1
	s_delay_alu instid0(VALU_DEP_1) | instskip(SKIP_1) | instid1(VALU_DEP_2)
	v_dual_fmac_f32 v6, 0xbf167918, v5 :: v_dual_add_f32 v7, v7, v20
	v_fmac_f32_e32 v9, 0x3f167918, v5
	v_fmac_f32_e32 v6, 0x3e9e377a, v14
	s_delay_alu instid0(VALU_DEP_2) | instskip(SKIP_3) | instid1(VALU_DEP_4)
	v_dual_add_f32 v12, v7, v16 :: v_dual_fmac_f32 v9, 0x3e9e377a, v14
	v_sub_f32_e32 v14, v1, v20
	v_add_f32_e32 v17, v1, v15
	v_fmamk_f32 v5, v8, 0x3f737871, v3
	v_dual_fmac_f32 v3, 0xbf737871, v8 :: v_dual_add_f32 v12, v12, v15
	s_delay_alu instid0(VALU_DEP_3) | instskip(NEXT) | instid1(VALU_DEP_3)
	v_fmac_f32_e32 v10, -0.5, v17
	v_fmac_f32_e32 v5, 0x3f167918, v13
	s_delay_alu instid0(VALU_DEP_3) | instskip(NEXT) | instid1(VALU_DEP_3)
	v_fmac_f32_e32 v3, 0xbf167918, v13
	v_fmamk_f32 v7, v13, 0xbf737871, v10
	v_fmac_f32_e32 v10, 0x3f737871, v13
	s_delay_alu instid0(VALU_DEP_1) | instskip(SKIP_1) | instid1(VALU_DEP_1)
	v_dual_sub_f32 v1, v20, v1 :: v_dual_fmac_f32 v10, 0xbf167918, v8
	v_dual_sub_f32 v17, v15, v16 :: v_dual_sub_f32 v16, v16, v15
	v_add_f32_e32 v1, v1, v16
	s_delay_alu instid0(VALU_DEP_1) | instskip(NEXT) | instid1(VALU_DEP_3)
	v_fmac_f32_e32 v10, 0x3e9e377a, v1
	v_dual_add_f32 v14, v14, v17 :: v_dual_fmac_f32 v7, 0x3f167918, v8
	s_delay_alu instid0(VALU_DEP_1) | instskip(NEXT) | instid1(VALU_DEP_2)
	v_fmac_f32_e32 v5, 0x3e9e377a, v14
	v_fmac_f32_e32 v7, 0x3e9e377a, v1
	v_add_nc_u32_e32 v1, 0x400, v40
	v_fmac_f32_e32 v3, 0x3e9e377a, v14
	ds_store_b64 v40, v[11:12]
	ds_store_b64 v40, v[4:5] offset:840
	ds_store_2addr_b64 v1, v[6:7], v[9:10] offset0:82 offset1:187
	ds_store_b64 v40, v[2:3] offset:3360
	global_wb scope:SCOPE_SE
	s_wait_dscnt 0x0
	s_barrier_signal -1
	s_barrier_wait -1
	global_inv scope:SCOPE_SE
	s_and_b32 exec_lo, exec_lo, vcc_lo
	s_cbranch_execz .LBB0_23
; %bb.22:
	s_clause 0x6
	global_load_b64 v[14:15], v40, s[12:13]
	global_load_b64 v[16:17], v40, s[12:13] offset:600
	global_load_b64 v[18:19], v40, s[12:13] offset:1200
	;; [unrolled: 1-line block ×6, first 2 shown]
	ds_load_b64 v[28:29], v40
	ds_load_2addr_b64 v[2:5], v40 offset0:75 offset1:150
	ds_load_2addr_b64 v[6:9], v1 offset0:97 offset1:172
	;; [unrolled: 1-line block ×3, first 2 shown]
	s_mov_b32 s0, 0x859b8cec
	s_mov_b32 s1, 0x3f5f3526
	s_wait_loadcnt_dscnt 0x603
	v_mul_f32_e32 v0, v29, v15
	v_mul_f32_e32 v1, v28, v15
	s_wait_loadcnt_dscnt 0x502
	v_mul_f32_e32 v15, v3, v17
	s_wait_loadcnt 0x4
	v_dual_mul_f32 v17, v2, v17 :: v_dual_mul_f32 v30, v5, v19
	v_mul_f32_e32 v19, v4, v19
	s_wait_loadcnt_dscnt 0x201
	v_dual_mul_f32 v31, v7, v21 :: v_dual_mul_f32 v32, v9, v23
	s_wait_loadcnt_dscnt 0x0
	v_dual_mul_f32 v21, v6, v21 :: v_dual_mul_f32 v34, v13, v27
	v_mul_f32_e32 v23, v8, v23
	v_dual_mul_f32 v33, v11, v25 :: v_dual_fmac_f32 v0, v28, v14
	v_dual_mul_f32 v25, v10, v25 :: v_dual_fmac_f32 v30, v4, v18
	v_fma_f32 v14, v14, v29, -v1
	v_mul_f32_e32 v27, v12, v27
	v_dual_fmac_f32 v15, v2, v16 :: v_dual_fmac_f32 v32, v8, v22
	v_fma_f32 v16, v16, v3, -v17
	v_fma_f32 v17, v18, v5, -v19
	v_dual_fmac_f32 v31, v6, v20 :: v_dual_fmac_f32 v34, v12, v26
	v_fma_f32 v18, v20, v7, -v21
	v_fma_f32 v19, v22, v9, -v23
	v_fmac_f32_e32 v33, v10, v24
	v_fma_f32 v22, v24, v11, -v25
	v_cvt_f64_f32_e32 v[0:1], v0
	v_cvt_f64_f32_e32 v[2:3], v14
	v_fma_f32 v26, v26, v13, -v27
	v_cvt_f64_f32_e32 v[4:5], v15
	v_cvt_f64_f32_e32 v[6:7], v16
	;; [unrolled: 1-line block ×12, first 2 shown]
	v_mad_co_u64_u32 v[28:29], null, s6, v36, 0
	v_mad_co_u64_u32 v[30:31], null, s4, v39, 0
	s_delay_alu instid0(VALU_DEP_1) | instskip(NEXT) | instid1(VALU_DEP_1)
	v_mad_co_u64_u32 v[32:33], null, s7, v36, v[29:30]
	v_mad_co_u64_u32 v[33:34], null, s5, v39, v[31:32]
	v_mov_b32_e32 v29, v32
	s_wait_alu 0xfffe
	v_mul_f64_e32 v[0:1], s[0:1], v[0:1]
	v_mul_f64_e32 v[2:3], s[0:1], v[2:3]
	s_delay_alu instid0(VALU_DEP_3)
	v_lshlrev_b64_e32 v[28:29], 3, v[28:29]
	v_mul_f64_e32 v[4:5], s[0:1], v[4:5]
	v_mul_f64_e32 v[6:7], s[0:1], v[6:7]
	;; [unrolled: 1-line block ×12, first 2 shown]
	v_mov_b32_e32 v31, v33
	v_add_co_u32 v28, vcc_lo, s8, v28
	v_add_co_ci_u32_e32 v29, vcc_lo, s9, v29, vcc_lo
	s_delay_alu instid0(VALU_DEP_3)
	v_lshlrev_b64_e32 v[30:31], 3, v[30:31]
	s_mul_u64 s[0:1], s[4:5], 0x258
	v_cvt_f32_f64_e32 v0, v[0:1]
	v_cvt_f32_f64_e32 v1, v[2:3]
	;; [unrolled: 1-line block ×14, first 2 shown]
	v_add_co_u32 v14, vcc_lo, v28, v30
	s_wait_alu 0xfffd
	v_add_co_ci_u32_e32 v15, vcc_lo, v29, v31, vcc_lo
	s_wait_alu 0xfffe
	s_delay_alu instid0(VALU_DEP_2) | instskip(SKIP_1) | instid1(VALU_DEP_2)
	v_add_co_u32 v16, vcc_lo, v14, s0
	s_wait_alu 0xfffd
	v_add_co_ci_u32_e32 v17, vcc_lo, s1, v15, vcc_lo
	s_delay_alu instid0(VALU_DEP_2) | instskip(SKIP_1) | instid1(VALU_DEP_2)
	v_add_co_u32 v18, vcc_lo, v16, s0
	s_wait_alu 0xfffd
	v_add_co_ci_u32_e32 v19, vcc_lo, s1, v17, vcc_lo
	;; [unrolled: 4-line block ×6, first 2 shown]
	s_clause 0x4
	global_store_b64 v[14:15], v[0:1], off
	global_store_b64 v[16:17], v[2:3], off
	;; [unrolled: 1-line block ×7, first 2 shown]
.LBB0_23:
	s_nop 0
	s_sendmsg sendmsg(MSG_DEALLOC_VGPRS)
	s_endpgm
	.section	.rodata,"a",@progbits
	.p2align	6, 0x0
	.amdhsa_kernel bluestein_single_fwd_len525_dim1_sp_op_CI_CI
		.amdhsa_group_segment_fixed_size 4200
		.amdhsa_private_segment_fixed_size 0
		.amdhsa_kernarg_size 104
		.amdhsa_user_sgpr_count 2
		.amdhsa_user_sgpr_dispatch_ptr 0
		.amdhsa_user_sgpr_queue_ptr 0
		.amdhsa_user_sgpr_kernarg_segment_ptr 1
		.amdhsa_user_sgpr_dispatch_id 0
		.amdhsa_user_sgpr_private_segment_size 0
		.amdhsa_wavefront_size32 1
		.amdhsa_uses_dynamic_stack 0
		.amdhsa_enable_private_segment 0
		.amdhsa_system_sgpr_workgroup_id_x 1
		.amdhsa_system_sgpr_workgroup_id_y 0
		.amdhsa_system_sgpr_workgroup_id_z 0
		.amdhsa_system_sgpr_workgroup_info 0
		.amdhsa_system_vgpr_workitem_id 0
		.amdhsa_next_free_vgpr 79
		.amdhsa_next_free_sgpr 14
		.amdhsa_reserve_vcc 1
		.amdhsa_float_round_mode_32 0
		.amdhsa_float_round_mode_16_64 0
		.amdhsa_float_denorm_mode_32 3
		.amdhsa_float_denorm_mode_16_64 3
		.amdhsa_fp16_overflow 0
		.amdhsa_workgroup_processor_mode 1
		.amdhsa_memory_ordered 1
		.amdhsa_forward_progress 0
		.amdhsa_round_robin_scheduling 0
		.amdhsa_exception_fp_ieee_invalid_op 0
		.amdhsa_exception_fp_denorm_src 0
		.amdhsa_exception_fp_ieee_div_zero 0
		.amdhsa_exception_fp_ieee_overflow 0
		.amdhsa_exception_fp_ieee_underflow 0
		.amdhsa_exception_fp_ieee_inexact 0
		.amdhsa_exception_int_div_zero 0
	.end_amdhsa_kernel
	.text
.Lfunc_end0:
	.size	bluestein_single_fwd_len525_dim1_sp_op_CI_CI, .Lfunc_end0-bluestein_single_fwd_len525_dim1_sp_op_CI_CI
                                        ; -- End function
	.section	.AMDGPU.csdata,"",@progbits
; Kernel info:
; codeLenInByte = 7152
; NumSgprs: 16
; NumVgprs: 79
; ScratchSize: 0
; MemoryBound: 0
; FloatMode: 240
; IeeeMode: 1
; LDSByteSize: 4200 bytes/workgroup (compile time only)
; SGPRBlocks: 1
; VGPRBlocks: 9
; NumSGPRsForWavesPerEU: 16
; NumVGPRsForWavesPerEU: 79
; Occupancy: 16
; WaveLimiterHint : 1
; COMPUTE_PGM_RSRC2:SCRATCH_EN: 0
; COMPUTE_PGM_RSRC2:USER_SGPR: 2
; COMPUTE_PGM_RSRC2:TRAP_HANDLER: 0
; COMPUTE_PGM_RSRC2:TGID_X_EN: 1
; COMPUTE_PGM_RSRC2:TGID_Y_EN: 0
; COMPUTE_PGM_RSRC2:TGID_Z_EN: 0
; COMPUTE_PGM_RSRC2:TIDIG_COMP_CNT: 0
	.text
	.p2alignl 7, 3214868480
	.fill 96, 4, 3214868480
	.type	__hip_cuid_d2338c84f64997ad,@object ; @__hip_cuid_d2338c84f64997ad
	.section	.bss,"aw",@nobits
	.globl	__hip_cuid_d2338c84f64997ad
__hip_cuid_d2338c84f64997ad:
	.byte	0                               ; 0x0
	.size	__hip_cuid_d2338c84f64997ad, 1

	.ident	"AMD clang version 19.0.0git (https://github.com/RadeonOpenCompute/llvm-project roc-6.4.0 25133 c7fe45cf4b819c5991fe208aaa96edf142730f1d)"
	.section	".note.GNU-stack","",@progbits
	.addrsig
	.addrsig_sym __hip_cuid_d2338c84f64997ad
	.amdgpu_metadata
---
amdhsa.kernels:
  - .args:
      - .actual_access:  read_only
        .address_space:  global
        .offset:         0
        .size:           8
        .value_kind:     global_buffer
      - .actual_access:  read_only
        .address_space:  global
        .offset:         8
        .size:           8
        .value_kind:     global_buffer
      - .actual_access:  read_only
        .address_space:  global
        .offset:         16
        .size:           8
        .value_kind:     global_buffer
      - .actual_access:  read_only
        .address_space:  global
        .offset:         24
        .size:           8
        .value_kind:     global_buffer
      - .actual_access:  read_only
        .address_space:  global
        .offset:         32
        .size:           8
        .value_kind:     global_buffer
      - .offset:         40
        .size:           8
        .value_kind:     by_value
      - .address_space:  global
        .offset:         48
        .size:           8
        .value_kind:     global_buffer
      - .address_space:  global
        .offset:         56
        .size:           8
        .value_kind:     global_buffer
      - .address_space:  global
        .offset:         64
        .size:           8
        .value_kind:     global_buffer
      - .address_space:  global
        .offset:         72
        .size:           8
        .value_kind:     global_buffer
      - .offset:         80
        .size:           4
        .value_kind:     by_value
      - .address_space:  global
        .offset:         88
        .size:           8
        .value_kind:     global_buffer
      - .address_space:  global
        .offset:         96
        .size:           8
        .value_kind:     global_buffer
    .group_segment_fixed_size: 4200
    .kernarg_segment_align: 8
    .kernarg_segment_size: 104
    .language:       OpenCL C
    .language_version:
      - 2
      - 0
    .max_flat_workgroup_size: 105
    .name:           bluestein_single_fwd_len525_dim1_sp_op_CI_CI
    .private_segment_fixed_size: 0
    .sgpr_count:     16
    .sgpr_spill_count: 0
    .symbol:         bluestein_single_fwd_len525_dim1_sp_op_CI_CI.kd
    .uniform_work_group_size: 1
    .uses_dynamic_stack: false
    .vgpr_count:     79
    .vgpr_spill_count: 0
    .wavefront_size: 32
    .workgroup_processor_mode: 1
amdhsa.target:   amdgcn-amd-amdhsa--gfx1201
amdhsa.version:
  - 1
  - 2
...

	.end_amdgpu_metadata
